;; amdgpu-corpus repo=ROCm/rocFFT kind=compiled arch=gfx1030 opt=O3
	.text
	.amdgcn_target "amdgcn-amd-amdhsa--gfx1030"
	.amdhsa_code_object_version 6
	.protected	fft_rtc_back_len1496_factors_17_8_11_wgs_187_tpt_187_halfLds_half_op_CI_CI_unitstride_sbrr_dirReg ; -- Begin function fft_rtc_back_len1496_factors_17_8_11_wgs_187_tpt_187_halfLds_half_op_CI_CI_unitstride_sbrr_dirReg
	.globl	fft_rtc_back_len1496_factors_17_8_11_wgs_187_tpt_187_halfLds_half_op_CI_CI_unitstride_sbrr_dirReg
	.p2align	8
	.type	fft_rtc_back_len1496_factors_17_8_11_wgs_187_tpt_187_halfLds_half_op_CI_CI_unitstride_sbrr_dirReg,@function
fft_rtc_back_len1496_factors_17_8_11_wgs_187_tpt_187_halfLds_half_op_CI_CI_unitstride_sbrr_dirReg: ; @fft_rtc_back_len1496_factors_17_8_11_wgs_187_tpt_187_halfLds_half_op_CI_CI_unitstride_sbrr_dirReg
; %bb.0:
	s_clause 0x2
	s_load_dwordx4 s[12:15], s[4:5], 0x0
	s_load_dwordx4 s[8:11], s[4:5], 0x58
	;; [unrolled: 1-line block ×3, first 2 shown]
	v_mul_u32_u24_e32 v1, 0x15f, v0
	v_mov_b32_e32 v3, 0
	v_add_nc_u32_sdwa v5, s6, v1 dst_sel:DWORD dst_unused:UNUSED_PAD src0_sel:DWORD src1_sel:WORD_1
	v_mov_b32_e32 v1, 0
	v_mov_b32_e32 v6, v3
	v_mov_b32_e32 v2, 0
	s_waitcnt lgkmcnt(0)
	v_cmp_lt_u64_e64 s0, s[14:15], 2
	s_and_b32 vcc_lo, exec_lo, s0
	s_cbranch_vccnz .LBB0_8
; %bb.1:
	s_load_dwordx2 s[0:1], s[4:5], 0x10
	v_mov_b32_e32 v1, 0
	v_mov_b32_e32 v2, 0
	s_add_u32 s2, s18, 8
	s_addc_u32 s3, s19, 0
	s_add_u32 s6, s16, 8
	s_addc_u32 s7, s17, 0
	v_mov_b32_e32 v11, v2
	v_mov_b32_e32 v10, v1
	s_mov_b64 s[22:23], 1
	s_waitcnt lgkmcnt(0)
	s_add_u32 s20, s0, 8
	s_addc_u32 s21, s1, 0
.LBB0_2:                                ; =>This Inner Loop Header: Depth=1
	s_load_dwordx2 s[24:25], s[20:21], 0x0
                                        ; implicit-def: $vgpr14_vgpr15
	s_mov_b32 s0, exec_lo
	s_waitcnt lgkmcnt(0)
	v_or_b32_e32 v4, s25, v6
	v_cmpx_ne_u64_e32 0, v[3:4]
	s_xor_b32 s1, exec_lo, s0
	s_cbranch_execz .LBB0_4
; %bb.3:                                ;   in Loop: Header=BB0_2 Depth=1
	v_cvt_f32_u32_e32 v4, s24
	v_cvt_f32_u32_e32 v7, s25
	s_sub_u32 s0, 0, s24
	s_subb_u32 s26, 0, s25
	v_fmac_f32_e32 v4, 0x4f800000, v7
	v_rcp_f32_e32 v4, v4
	v_mul_f32_e32 v4, 0x5f7ffffc, v4
	v_mul_f32_e32 v7, 0x2f800000, v4
	v_trunc_f32_e32 v7, v7
	v_fmac_f32_e32 v4, 0xcf800000, v7
	v_cvt_u32_f32_e32 v7, v7
	v_cvt_u32_f32_e32 v4, v4
	v_mul_lo_u32 v8, s0, v7
	v_mul_hi_u32 v9, s0, v4
	v_mul_lo_u32 v12, s26, v4
	v_add_nc_u32_e32 v8, v9, v8
	v_mul_lo_u32 v9, s0, v4
	v_add_nc_u32_e32 v8, v8, v12
	v_mul_hi_u32 v12, v4, v9
	v_mul_lo_u32 v13, v4, v8
	v_mul_hi_u32 v14, v4, v8
	v_mul_hi_u32 v15, v7, v9
	v_mul_lo_u32 v9, v7, v9
	v_mul_hi_u32 v16, v7, v8
	v_mul_lo_u32 v8, v7, v8
	v_add_co_u32 v12, vcc_lo, v12, v13
	v_add_co_ci_u32_e32 v13, vcc_lo, 0, v14, vcc_lo
	v_add_co_u32 v9, vcc_lo, v12, v9
	v_add_co_ci_u32_e32 v9, vcc_lo, v13, v15, vcc_lo
	v_add_co_ci_u32_e32 v12, vcc_lo, 0, v16, vcc_lo
	v_add_co_u32 v8, vcc_lo, v9, v8
	v_add_co_ci_u32_e32 v9, vcc_lo, 0, v12, vcc_lo
	v_add_co_u32 v4, vcc_lo, v4, v8
	v_add_co_ci_u32_e32 v7, vcc_lo, v7, v9, vcc_lo
	v_mul_hi_u32 v8, s0, v4
	v_mul_lo_u32 v12, s26, v4
	v_mul_lo_u32 v9, s0, v7
	v_add_nc_u32_e32 v8, v8, v9
	v_mul_lo_u32 v9, s0, v4
	v_add_nc_u32_e32 v8, v8, v12
	v_mul_hi_u32 v12, v4, v9
	v_mul_lo_u32 v13, v4, v8
	v_mul_hi_u32 v14, v4, v8
	v_mul_hi_u32 v15, v7, v9
	v_mul_lo_u32 v9, v7, v9
	v_mul_hi_u32 v16, v7, v8
	v_mul_lo_u32 v8, v7, v8
	v_add_co_u32 v12, vcc_lo, v12, v13
	v_add_co_ci_u32_e32 v13, vcc_lo, 0, v14, vcc_lo
	v_add_co_u32 v9, vcc_lo, v12, v9
	v_add_co_ci_u32_e32 v9, vcc_lo, v13, v15, vcc_lo
	v_add_co_ci_u32_e32 v12, vcc_lo, 0, v16, vcc_lo
	v_add_co_u32 v8, vcc_lo, v9, v8
	v_add_co_ci_u32_e32 v9, vcc_lo, 0, v12, vcc_lo
	v_add_co_u32 v4, vcc_lo, v4, v8
	v_add_co_ci_u32_e32 v9, vcc_lo, v7, v9, vcc_lo
	v_mul_hi_u32 v16, v5, v4
	v_mad_u64_u32 v[12:13], null, v6, v4, 0
	v_mad_u64_u32 v[7:8], null, v5, v9, 0
	;; [unrolled: 1-line block ×3, first 2 shown]
	v_add_co_u32 v4, vcc_lo, v16, v7
	v_add_co_ci_u32_e32 v7, vcc_lo, 0, v8, vcc_lo
	v_add_co_u32 v4, vcc_lo, v4, v12
	v_add_co_ci_u32_e32 v4, vcc_lo, v7, v13, vcc_lo
	v_add_co_ci_u32_e32 v7, vcc_lo, 0, v15, vcc_lo
	v_add_co_u32 v4, vcc_lo, v4, v14
	v_add_co_ci_u32_e32 v9, vcc_lo, 0, v7, vcc_lo
	v_mul_lo_u32 v12, s25, v4
	v_mad_u64_u32 v[7:8], null, s24, v4, 0
	v_mul_lo_u32 v13, s24, v9
	v_sub_co_u32 v7, vcc_lo, v5, v7
	v_add3_u32 v8, v8, v13, v12
	v_sub_nc_u32_e32 v12, v6, v8
	v_subrev_co_ci_u32_e64 v12, s0, s25, v12, vcc_lo
	v_add_co_u32 v13, s0, v4, 2
	v_add_co_ci_u32_e64 v14, s0, 0, v9, s0
	v_sub_co_u32 v15, s0, v7, s24
	v_sub_co_ci_u32_e32 v8, vcc_lo, v6, v8, vcc_lo
	v_subrev_co_ci_u32_e64 v12, s0, 0, v12, s0
	v_cmp_le_u32_e32 vcc_lo, s24, v15
	v_cmp_eq_u32_e64 s0, s25, v8
	v_cndmask_b32_e64 v15, 0, -1, vcc_lo
	v_cmp_le_u32_e32 vcc_lo, s25, v12
	v_cndmask_b32_e64 v16, 0, -1, vcc_lo
	v_cmp_le_u32_e32 vcc_lo, s24, v7
	;; [unrolled: 2-line block ×3, first 2 shown]
	v_cndmask_b32_e64 v17, 0, -1, vcc_lo
	v_cmp_eq_u32_e32 vcc_lo, s25, v12
	v_cndmask_b32_e64 v7, v17, v7, s0
	v_cndmask_b32_e32 v12, v16, v15, vcc_lo
	v_add_co_u32 v15, vcc_lo, v4, 1
	v_add_co_ci_u32_e32 v16, vcc_lo, 0, v9, vcc_lo
	v_cmp_ne_u32_e32 vcc_lo, 0, v12
	v_cndmask_b32_e32 v8, v16, v14, vcc_lo
	v_cndmask_b32_e32 v12, v15, v13, vcc_lo
	v_cmp_ne_u32_e32 vcc_lo, 0, v7
	v_cndmask_b32_e32 v15, v9, v8, vcc_lo
	v_cndmask_b32_e32 v14, v4, v12, vcc_lo
.LBB0_4:                                ;   in Loop: Header=BB0_2 Depth=1
	s_andn2_saveexec_b32 s0, s1
	s_cbranch_execz .LBB0_6
; %bb.5:                                ;   in Loop: Header=BB0_2 Depth=1
	v_cvt_f32_u32_e32 v4, s24
	s_sub_i32 s1, 0, s24
	v_mov_b32_e32 v15, v3
	v_rcp_iflag_f32_e32 v4, v4
	v_mul_f32_e32 v4, 0x4f7ffffe, v4
	v_cvt_u32_f32_e32 v4, v4
	v_mul_lo_u32 v7, s1, v4
	v_mul_hi_u32 v7, v4, v7
	v_add_nc_u32_e32 v4, v4, v7
	v_mul_hi_u32 v4, v5, v4
	v_mul_lo_u32 v7, v4, s24
	v_add_nc_u32_e32 v8, 1, v4
	v_sub_nc_u32_e32 v7, v5, v7
	v_subrev_nc_u32_e32 v9, s24, v7
	v_cmp_le_u32_e32 vcc_lo, s24, v7
	v_cndmask_b32_e32 v7, v7, v9, vcc_lo
	v_cndmask_b32_e32 v4, v4, v8, vcc_lo
	v_cmp_le_u32_e32 vcc_lo, s24, v7
	v_add_nc_u32_e32 v8, 1, v4
	v_cndmask_b32_e32 v14, v4, v8, vcc_lo
.LBB0_6:                                ;   in Loop: Header=BB0_2 Depth=1
	s_or_b32 exec_lo, exec_lo, s0
	v_mul_lo_u32 v4, v15, s24
	v_mul_lo_u32 v9, v14, s25
	s_load_dwordx2 s[0:1], s[6:7], 0x0
	v_mad_u64_u32 v[7:8], null, v14, s24, 0
	s_load_dwordx2 s[24:25], s[2:3], 0x0
	s_add_u32 s22, s22, 1
	s_addc_u32 s23, s23, 0
	s_add_u32 s2, s2, 8
	s_addc_u32 s3, s3, 0
	s_add_u32 s6, s6, 8
	v_add3_u32 v4, v8, v9, v4
	v_sub_co_u32 v5, vcc_lo, v5, v7
	s_addc_u32 s7, s7, 0
	s_add_u32 s20, s20, 8
	v_sub_co_ci_u32_e32 v4, vcc_lo, v6, v4, vcc_lo
	s_addc_u32 s21, s21, 0
	s_waitcnt lgkmcnt(0)
	v_mul_lo_u32 v6, s0, v4
	v_mul_lo_u32 v7, s1, v5
	v_mad_u64_u32 v[1:2], null, s0, v5, v[1:2]
	v_mul_lo_u32 v4, s24, v4
	v_mul_lo_u32 v8, s25, v5
	v_mad_u64_u32 v[10:11], null, s24, v5, v[10:11]
	v_cmp_ge_u64_e64 s0, s[22:23], s[14:15]
	v_add3_u32 v2, v7, v2, v6
	v_add3_u32 v11, v8, v11, v4
	s_and_b32 vcc_lo, exec_lo, s0
	s_cbranch_vccnz .LBB0_9
; %bb.7:                                ;   in Loop: Header=BB0_2 Depth=1
	v_mov_b32_e32 v5, v14
	v_mov_b32_e32 v6, v15
	s_branch .LBB0_2
.LBB0_8:
	v_mov_b32_e32 v11, v2
	v_mov_b32_e32 v15, v6
	;; [unrolled: 1-line block ×4, first 2 shown]
.LBB0_9:
	s_load_dwordx2 s[0:1], s[4:5], 0x28
	v_mul_hi_u32 v3, 0x15e75bc, v0
	s_lshl_b64 s[4:5], s[14:15], 3
	v_mov_b32_e32 v22, 0
	s_add_u32 s2, s18, s4
	s_addc_u32 s3, s19, s5
                                        ; implicit-def: $vgpr27
                                        ; implicit-def: $vgpr35
                                        ; implicit-def: $vgpr26
                                        ; implicit-def: $vgpr36
                                        ; implicit-def: $vgpr25
                                        ; implicit-def: $vgpr33
                                        ; implicit-def: $vgpr24
                                        ; implicit-def: $vgpr34
                                        ; implicit-def: $vgpr23
                                        ; implicit-def: $vgpr32
                                        ; implicit-def: $vgpr21
                                        ; implicit-def: $vgpr31
                                        ; implicit-def: $vgpr20
                                        ; implicit-def: $vgpr28
                                        ; implicit-def: $vgpr13
                                        ; implicit-def: $vgpr19
                                        ; implicit-def: $vgpr4
                                        ; implicit-def: $vgpr42
                                        ; implicit-def: $vgpr5
                                        ; implicit-def: $vgpr41
                                        ; implicit-def: $vgpr6
                                        ; implicit-def: $vgpr40
                                        ; implicit-def: $vgpr7
                                        ; implicit-def: $vgpr39
                                        ; implicit-def: $vgpr8
                                        ; implicit-def: $vgpr38
                                        ; implicit-def: $vgpr9
                                        ; implicit-def: $vgpr37
                                        ; implicit-def: $vgpr16
                                        ; implicit-def: $vgpr30
                                        ; implicit-def: $vgpr17
                                        ; implicit-def: $vgpr29
	v_mul_u32_u24_e32 v3, 0xbb, v3
	v_sub_nc_u32_e32 v12, v0, v3
	v_mov_b32_e32 v3, 0
	s_waitcnt lgkmcnt(0)
	v_cmp_gt_u64_e32 vcc_lo, s[0:1], v[14:15]
	v_cmp_gt_u32_e64 s0, 0x58, v12
	s_and_b32 s1, vcc_lo, s0
	s_and_saveexec_b32 s6, s1
	s_cbranch_execz .LBB0_11
; %bb.10:
	s_add_u32 s4, s16, s4
	s_addc_u32 s5, s17, s5
	v_mov_b32_e32 v13, 0
	s_load_dwordx2 s[4:5], s[4:5], 0x0
	s_waitcnt lgkmcnt(0)
	v_mul_lo_u32 v0, s5, v14
	v_mul_lo_u32 v5, s4, v15
	v_mad_u64_u32 v[3:4], null, s4, v14, 0
	v_add3_u32 v4, v4, v5, v0
	v_lshlrev_b64 v[0:1], 2, v[1:2]
	v_or_b32_e32 v2, 0x580, v12
	v_lshlrev_b64 v[5:6], 2, v[12:13]
	v_lshlrev_b64 v[3:4], 2, v[3:4]
	v_add_co_u32 v7, s1, s8, v3
	v_add_co_ci_u32_e64 v4, s1, s9, v4, s1
	v_mov_b32_e32 v3, v13
	v_add_co_u32 v7, s1, v7, v0
	v_add_co_ci_u32_e64 v8, s1, v4, v1, s1
	v_lshlrev_b64 v[0:1], 2, v[2:3]
	v_add_co_u32 v4, s1, v7, v5
	v_add_co_ci_u32_e64 v5, s1, v8, v6, s1
	v_add_co_u32 v0, s1, v7, v0
	v_add_co_ci_u32_e64 v1, s1, v8, v1, s1
	;; [unrolled: 2-line block ×4, first 2 shown]
	s_clause 0x10
	global_load_dword v3, v[4:5], off
	global_load_dword v35, v[4:5], off offset:352
	global_load_dword v36, v[4:5], off offset:704
	global_load_dword v33, v[4:5], off offset:1056
	global_load_dword v34, v[4:5], off offset:1408
	global_load_dword v32, v[4:5], off offset:1760
	global_load_dword v31, v[6:7], off offset:64
	global_load_dword v28, v[6:7], off offset:416
	global_load_dword v19, v[6:7], off offset:768
	global_load_dword v29, v[6:7], off offset:1120
	global_load_dword v30, v[6:7], off offset:1472
	global_load_dword v37, v[6:7], off offset:1824
	global_load_dword v38, v[8:9], off offset:128
	global_load_dword v39, v[8:9], off offset:480
	global_load_dword v40, v[8:9], off offset:832
	global_load_dword v41, v[8:9], off offset:1184
	global_load_dword v42, v[0:1], off
	s_waitcnt vmcnt(16)
	v_lshrrev_b32_e32 v22, 16, v3
	s_waitcnt vmcnt(15)
	v_lshrrev_b32_e32 v27, 16, v35
	;; [unrolled: 2-line block ×17, first 2 shown]
.LBB0_11:
	s_or_b32 exec_lo, exec_lo, s6
	v_sub_f16_e32 v49, v27, v4
	v_add_f16_e32 v50, v35, v42
	v_sub_f16_e32 v47, v26, v5
	v_add_f16_e32 v51, v36, v41
	v_sub_f16_e32 v54, v25, v6
	v_pk_mul_f16 v0, 0xb836b1e1, v49 op_sel_hi:[1,0]
	v_add_f16_e32 v53, v33, v40
	v_pk_mul_f16 v1, 0x3b2935c8, v47 op_sel_hi:[1,0]
	v_sub_f16_e32 v56, v24, v7
	v_pk_mul_f16 v2, 0xbbf7b836, v54 op_sel_hi:[1,0]
	v_pk_fma_f16 v52, 0xbacdbbdd, v50, v0 op_sel_hi:[1,0,1]
	v_pk_fma_f16 v0, 0xbacdbbdd, v50, v0 op_sel_hi:[1,0,1] neg_lo:[0,0,1] neg_hi:[0,0,1]
	v_pk_fma_f16 v48, 0x37223b76, v51, v1 op_sel_hi:[1,0,1]
	v_pk_fma_f16 v1, 0x37223b76, v51, v1 op_sel_hi:[1,0,1] neg_lo:[0,0,1] neg_hi:[0,0,1]
	v_add_f16_e32 v55, v34, v39
	v_add_f16_e32 v18, v3, v52
	v_pk_add_f16 v0, v3, v0 op_sel_hi:[0,1]
	v_pk_fma_f16 v44, 0x2de8bacd, v53, v2 op_sel_hi:[1,0,1]
	v_pk_fma_f16 v2, 0x2de8bacd, v53, v2 op_sel_hi:[1,0,1] neg_lo:[0,0,1] neg_hi:[0,0,1]
	v_sub_f16_e32 v58, v23, v8
	v_add_f16_e32 v18, v18, v48
	v_pk_add_f16 v0, v0, v1
	v_pk_mul_f16 v1, 0x3a623964, v56 op_sel_hi:[1,0]
	v_add_f16_e32 v57, v32, v38
	v_sub_f16_e32 v59, v21, v9
	v_add_f16_e32 v18, v18, v44
	v_pk_add_f16 v0, v0, v2
	v_pk_fma_f16 v45, 0xb8d239e9, v55, v1 op_sel_hi:[1,0,1]
	v_pk_fma_f16 v1, 0xb8d239e9, v55, v1 op_sel_hi:[1,0,1] neg_lo:[0,0,1] neg_hi:[0,0,1]
	v_pk_mul_f16 v2, 0xb5c8ba62, v58 op_sel_hi:[1,0]
	v_add_f16_e32 v60, v31, v37
	v_sub_f16_e32 v62, v20, v16
	v_add_f16_e32 v18, v18, v45
	v_pk_add_f16 v0, v0, v1
	v_pk_fma_f16 v46, 0x3b76b8d2, v57, v2 op_sel_hi:[1,0,1]
	v_pk_fma_f16 v1, 0x3b76b8d2, v57, v2 op_sel_hi:[1,0,1] neg_lo:[0,0,1] neg_hi:[0,0,1]
	v_pk_mul_f16 v2, 0xb1e13b29, v59 op_sel_hi:[1,0]
	v_add_f16_e32 v61, v28, v30
	v_add_f16_e32 v63, v19, v29
	;; [unrolled: 1-line block ×3, first 2 shown]
	v_pk_add_f16 v0, v0, v1
	v_pk_fma_f16 v43, 0xbbdd3722, v60, v2 op_sel_hi:[1,0,1]
	v_pk_fma_f16 v1, 0xbbdd3722, v60, v2 op_sel_hi:[1,0,1] neg_lo:[0,0,1] neg_hi:[0,0,1]
	v_pk_mul_f16 v2, 0x3964bbb2, v62 op_sel_hi:[1,0]
	v_sub_f16_e32 v64, v13, v17
	v_pk_mul_f16 v65, 0xb4612de8, v63 op_sel_hi:[1,0]
	v_add_f16_e32 v18, v18, v43
	v_pk_add_f16 v0, v0, v1
	v_pk_fma_f16 v1, 0x39e9b461, v61, v2 op_sel_hi:[1,0,1]
	v_pk_fma_f16 v2, 0x39e9b461, v61, v2 op_sel_hi:[1,0,1] neg_lo:[0,0,1] neg_hi:[0,0,1]
	v_add_f16_e32 v18, v18, v1
	v_pk_add_f16 v0, v0, v2
	v_pk_fma_f16 v2, 0xbbb23bf7, v64, v65 op_sel_hi:[1,0,1]
	v_pk_fma_f16 v65, 0xbbb23bf7, v64, v65 op_sel_hi:[1,0,1] neg_lo:[0,1,0] neg_hi:[0,1,0]
	v_add_f16_e32 v18, v18, v2
	v_pk_add_f16 v0, v0, v65
	s_and_saveexec_b32 s1, s0
	s_cbranch_execz .LBB0_13
; %bb.12:
	v_add_f16_e32 v65, v3, v35
	v_perm_b32 v66, v3, v3, 0x5040100
	v_add_f16_sdwa v3, v3, v52 dst_sel:DWORD dst_unused:UNUSED_PAD src0_sel:DWORD src1_sel:WORD_1
	v_pack_b32_f16 v49, v49, v49
	v_pack_b32_f16 v50, v50, v50
	v_add_f16_e32 v65, v65, v36
	v_pack_b32_f16 v47, v47, v47
	v_add_f16_sdwa v3, v3, v48 dst_sel:DWORD dst_unused:UNUSED_PAD src0_sel:DWORD src1_sel:WORD_1
	v_pack_b32_f16 v62, v62, v62
	v_pk_mul_f16 v74, 0xbbf7bb29, v49
	v_add_f16_e32 v65, v65, v33
	v_pack_b32_f16 v51, v51, v51
	v_add_f16_sdwa v3, v3, v44 dst_sel:DWORD dst_unused:UNUSED_PAD src0_sel:DWORD src1_sel:WORD_1
	v_pack_b32_f16 v54, v54, v54
	v_pack_b32_f16 v56, v56, v56
	v_add_f16_e32 v65, v65, v34
	v_pack_b32_f16 v58, v58, v58
	v_add_f16_sdwa v3, v3, v45 dst_sel:DWORD dst_unused:UNUSED_PAD src0_sel:DWORD src1_sel:WORD_1
	v_pack_b32_f16 v59, v59, v59
	v_pack_b32_f16 v64, v64, v64
	v_add_f16_e32 v52, v65, v32
	v_pk_mul_f16 v67, 0x3bb23836, v47
	v_add_f16_sdwa v3, v3, v46 dst_sel:DWORD dst_unused:UNUSED_PAD src0_sel:DWORD src1_sel:WORD_1
	v_pk_mul_f16 v72, 0xb1e1b5c8, v62
	v_pk_mul_f16 v75, 0xb1e1ba62, v47
	v_add_f16_e32 v48, v52, v31
	v_pk_mul_f16 v52, 0xba62bbb2, v49
	v_pk_mul_f16 v49, 0xb964b5c8, v49
	;; [unrolled: 1-line block ×4, first 2 shown]
	v_add_f16_e32 v48, v48, v28
	v_pk_mul_f16 v45, 0x3b29b836, v62
	v_pk_fma_f16 v62, 0x39e93b76, v50, v49
	v_add_f16_sdwa v3, v3, v43 dst_sel:DWORD dst_unused:UNUSED_PAD src0_sel:DWORD src1_sel:WORD_1
	v_pack_b32_f16 v53, v53, v53
	v_add_f16_e32 v48, v48, v19
	v_pk_mul_f16 v68, 0xb5c83964, v54
	v_pk_mul_f16 v69, 0xb836bb29, v56
	;; [unrolled: 1-line block ×4, first 2 shown]
	v_add_f16_e32 v48, v48, v29
	v_pk_mul_f16 v73, 0x3b29ba62, v64
	v_pk_mul_f16 v76, 0x3bb231e1, v54
	;; [unrolled: 1-line block ×4, first 2 shown]
	v_add_f16_e32 v48, v30, v48
	v_pk_mul_f16 v79, 0xb836b5c8, v59
	v_pk_mul_f16 v81, 0x3964b836, v64
	;; [unrolled: 1-line block ×3, first 2 shown]
	v_pk_fma_f16 v46, 0x2de839e9, v51, v47
	v_add_f16_e32 v44, v37, v48
	v_pk_mul_f16 v48, 0xb1e1bbf7, v56
	v_pk_mul_f16 v56, 0x3836bbb2, v58
	v_pk_mul_f16 v58, 0x3bb2ba62, v59
	v_pk_mul_f16 v59, 0x35c8b1e1, v64
	v_add_f16_e32 v44, v38, v44
	v_pk_fma_f16 v64, 0x2de83722, v50, v74
	v_pk_add_f16 v62, v66, v62
	v_add_f16_sdwa v1, v3, v1 dst_sel:DWORD dst_unused:UNUSED_PAD src0_sel:DWORD src1_sel:WORD_1
	v_pack_b32_f16 v55, v55, v55
	v_add_f16_e32 v44, v39, v44
	v_pk_fma_f16 v82, 0xbbddb8d2, v51, v75
	v_pk_add_f16 v46, v62, v46
	v_add_f16_sdwa v1, v1, v2 dst_sel:DWORD dst_unused:UNUSED_PAD src0_sel:DWORD src1_sel:WORD_1
	v_pack_b32_f16 v57, v57, v57
	v_add_f16_e32 v43, v40, v44
	v_pk_fma_f16 v62, 0xb461bbdd, v53, v76
	v_pack_b32_f16 v60, v60, v60
	v_pack_b32_f16 v61, v61, v61
	;; [unrolled: 1-line block ×3, first 2 shown]
	v_add_f16_e32 v3, v41, v43
	v_pk_add_f16 v43, v66, v64
	v_pk_fma_f16 v44, 0xb8d2b461, v50, v52
	v_pk_fma_f16 v83, 0xb461bacd, v51, v67
	v_pk_fma_f16 v49, 0x39e93b76, v50, v49 neg_lo:[0,0,1] neg_hi:[0,0,1]
	v_add_f16_e32 v2, v42, v3
	v_pk_fma_f16 v3, 0xb8d23722, v53, v54
	v_pk_add_f16 v43, v43, v82
	v_pk_add_f16 v44, v66, v44
	v_pk_fma_f16 v64, 0x3b7639e9, v53, v68
	v_pk_add_f16 v49, v66, v49
	v_pk_add_f16 v3, v46, v3
	v_pk_fma_f16 v46, 0xbbdd2de8, v55, v48
	v_pk_add_f16 v43, v43, v62
	v_pk_fma_f16 v62, 0x3b76b461, v55, v77
	v_pk_add_f16 v44, v44, v83
	v_pk_fma_f16 v47, 0x2de839e9, v51, v47 neg_lo:[0,0,1] neg_hi:[0,0,1]
	v_pk_add_f16 v3, v3, v46
	v_pk_fma_f16 v46, 0xbacdb461, v57, v56
	v_pk_add_f16 v43, v43, v62
	v_pk_fma_f16 v62, 0x372239e9, v57, v78
	;; [unrolled: 2-line block ×5, first 2 shown]
	v_pk_add_f16 v47, v49, v47
	v_pk_fma_f16 v49, 0xb8d23722, v53, v54 neg_lo:[0,0,1] neg_hi:[0,0,1]
	v_pk_add_f16 v3, v3, v46
	v_pk_fma_f16 v46, 0x3722bacd, v61, v45
	v_pk_add_f16 v43, v43, v62
	v_pk_fma_f16 v62, 0xb8d22de8, v61, v80
	;; [unrolled: 2-line block ×5, first 2 shown]
	v_pk_add_f16 v47, v47, v49
	v_pk_fma_f16 v48, 0xbbdd2de8, v55, v48 neg_lo:[0,0,1] neg_hi:[0,0,1]
	v_pk_add_f16 v3, v3, v46
	v_pk_fma_f16 v46, 0xb8d2b461, v50, v52 neg_lo:[0,0,1] neg_hi:[0,0,1]
	v_pk_fma_f16 v52, 0x2de83722, v50, v74 neg_lo:[0,0,1] neg_hi:[0,0,1]
	v_pk_add_f16 v43, v43, v62
	v_pk_fma_f16 v50, 0xb461bacd, v51, v67 neg_lo:[0,0,1] neg_hi:[0,0,1]
	v_pk_fma_f16 v62, 0xbbddb8d2, v51, v75 neg_lo:[0,0,1] neg_hi:[0,0,1]
	v_pk_add_f16 v46, v66, v46
	v_pk_add_f16 v52, v66, v52
	;; [unrolled: 1-line block ×3, first 2 shown]
	v_pk_fma_f16 v64, 0x39e92de8, v60, v71
	v_pk_fma_f16 v49, 0x2de8bbdd, v57, v70 neg_lo:[0,0,1] neg_hi:[0,0,1]
	v_pk_add_f16 v46, v46, v50
	v_pk_fma_f16 v50, 0x3b7639e9, v53, v68 neg_lo:[0,0,1] neg_hi:[0,0,1]
	v_pk_add_f16 v51, v52, v62
	;; [unrolled: 2-line block ×6, first 2 shown]
	v_pk_fma_f16 v64, 0xbbdd3b76, v61, v72
	v_pk_add_f16 v46, v46, v50
	v_pk_add_f16 v47, v47, v48
	;; [unrolled: 1-line block ×3, first 2 shown]
	v_pk_fma_f16 v51, 0x372239e9, v57, v78 neg_lo:[0,0,1] neg_hi:[0,0,1]
	v_pk_fma_f16 v48, 0xb461b8d2, v60, v58 neg_lo:[0,0,1] neg_hi:[0,0,1]
	v_pk_add_f16 v46, v46, v49
	v_pk_fma_f16 v49, 0x39e92de8, v60, v71 neg_lo:[0,0,1] neg_hi:[0,0,1]
	v_pk_add_f16 v44, v44, v64
	v_pk_add_f16 v50, v50, v51
	v_pk_fma_f16 v51, 0xbacd3b76, v60, v79 neg_lo:[0,0,1] neg_hi:[0,0,1]
	v_pk_fma_f16 v64, 0x3722b8d2, v63, v73
	v_pk_add_f16 v46, v46, v49
	v_pk_fma_f16 v49, 0xbbdd3b76, v61, v72 neg_lo:[0,0,1] neg_hi:[0,0,1]
	v_pk_add_f16 v47, v47, v48
	v_pk_add_f16 v50, v50, v51
	v_pk_fma_f16 v51, 0xb8d22de8, v61, v80 neg_lo:[0,0,1] neg_hi:[0,0,1]
	v_pk_fma_f16 v45, 0x3722bacd, v61, v45 neg_lo:[0,0,1] neg_hi:[0,0,1]
	v_pk_add_f16 v44, v44, v64
	v_pk_add_f16 v48, v46, v49
	v_pk_fma_f16 v49, 0x3722b8d2, v63, v73 neg_lo:[0,0,1] neg_hi:[0,0,1]
	v_pk_add_f16 v50, v50, v51
	v_pk_fma_f16 v51, 0x39e9bacd, v63, v81 neg_lo:[0,0,1] neg_hi:[0,0,1]
	;; [unrolled: 2-line block ×3, first 2 shown]
	v_alignbit_b32 v46, v1, v44, 16
	v_pk_add_f16 v1, v48, v49
	v_pk_add_f16 v48, v50, v51
	v_mad_u32_u24 v65, v12, 34, 0
	v_pk_add_f16 v47, v47, v52
	v_alignbit_b32 v45, v44, v43, 16
	v_alignbit_b32 v44, v43, v3, 16
	v_pack_b32_f16 v43, v2, v3
	v_alignbit_b32 v1, v1, v1, 16
	v_alignbit_b32 v2, v48, v48, 16
	;; [unrolled: 1-line block ×3, first 2 shown]
	ds_write_b128 v65, v[43:46]
	ds_write_b16 v65, v18 offset:16
	ds_write_b128 v65, v[0:3] offset:18
.LBB0_13:
	s_or_b32 exec_lo, exec_lo, s1
	v_sub_f16_e32 v42, v35, v42
	v_add_f16_e32 v44, v27, v4
	v_sub_f16_e32 v2, v36, v41
	v_add_f16_e32 v43, v26, v5
	v_sub_f16_e32 v40, v33, v40
	v_pk_mul_f16 v1, 0xb836b1e1, v42 op_sel_hi:[1,0]
	v_sub_f16_e32 v39, v34, v39
	v_pk_mul_f16 v33, 0x3b2935c8, v2 op_sel_hi:[1,0]
	v_add_f16_e32 v3, v25, v6
	v_sub_f16_e32 v38, v32, v38
	v_pk_fma_f16 v34, 0xbacdbbdd, v44, v1 op_sel_hi:[1,0,1]
	v_pk_mul_f16 v32, 0xbbf7b836, v40 op_sel_hi:[1,0]
	v_pk_fma_f16 v35, 0x37223b76, v43, v33 op_sel_hi:[1,0,1]
	v_pk_fma_f16 v1, 0xbacdbbdd, v44, v1 op_sel_hi:[1,0,1] neg_lo:[0,0,1] neg_hi:[0,0,1]
	v_add_f16_e32 v41, v24, v7
	v_pk_add_f16 v34, v22, v34 op_sel_hi:[0,1]
	v_sub_f16_e32 v37, v31, v37
	v_pk_mul_f16 v31, 0x3a623964, v39 op_sel_hi:[1,0]
	v_pk_fma_f16 v36, 0x2de8bacd, v3, v32 op_sel_hi:[1,0,1]
	v_pk_fma_f16 v33, 0x37223b76, v43, v33 op_sel_hi:[1,0,1] neg_lo:[0,0,1] neg_hi:[0,0,1]
	v_pk_add_f16 v34, v34, v35
	v_pk_add_f16 v1, v22, v1 op_sel_hi:[0,1]
	v_add_f16_e32 v45, v23, v8
	v_pk_mul_f16 v35, 0xb5c8ba62, v38 op_sel_hi:[1,0]
	v_pk_fma_f16 v47, 0xb8d239e9, v41, v31 op_sel_hi:[1,0,1]
	v_pk_add_f16 v34, v34, v36
	v_pk_fma_f16 v32, 0x2de8bacd, v3, v32 op_sel_hi:[1,0,1] neg_lo:[0,0,1] neg_hi:[0,0,1]
	v_pk_add_f16 v1, v1, v33
	v_add_f16_e32 v46, v21, v9
	v_pk_fma_f16 v33, 0x3b76b8d2, v45, v35 op_sel_hi:[1,0,1]
	v_pk_add_f16 v34, v34, v47
	v_pk_mul_f16 v51, 0xb1e13b29, v37 op_sel_hi:[1,0]
	v_pk_add_f16 v1, v1, v32
	v_pk_fma_f16 v31, 0xb8d239e9, v41, v31 op_sel_hi:[1,0,1] neg_lo:[0,0,1] neg_hi:[0,0,1]
	v_sub_f16_e32 v48, v28, v30
	v_pk_add_f16 v28, v34, v33
	v_pk_fma_f16 v30, 0xbbdd3722, v46, v51 op_sel_hi:[1,0,1]
	v_lshl_add_u32 v36, v12, 1, 0
	v_pk_add_f16 v1, v1, v31
	v_pk_fma_f16 v31, 0x3b76b8d2, v45, v35 op_sel_hi:[1,0,1] neg_lo:[0,0,1] neg_hi:[0,0,1]
	v_sub_f16_e32 v49, v19, v29
	v_pk_add_f16 v19, v28, v30
	s_waitcnt lgkmcnt(0)
	s_barrier
	v_pk_add_f16 v1, v1, v31
	buffer_gl0_inv
	ds_read_u16 v28, v36
	ds_read_u16 v35, v36 offset:374
	ds_read_u16 v34, v36 offset:748
	;; [unrolled: 1-line block ×7, first 2 shown]
	v_add_f16_e32 v47, v20, v16
	v_pk_mul_f16 v52, 0x3964bbb2, v48 op_sel_hi:[1,0]
	v_pk_fma_f16 v51, 0xbbdd3722, v46, v51 op_sel_hi:[1,0,1] neg_lo:[0,0,1] neg_hi:[0,0,1]
	v_add_f16_e32 v50, v13, v17
	s_waitcnt lgkmcnt(0)
	s_barrier
	v_pk_fma_f16 v53, 0x39e9b461, v47, v52 op_sel_hi:[1,0,1]
	v_pk_add_f16 v1, v1, v51
	v_pk_fma_f16 v51, 0x39e9b461, v47, v52 op_sel_hi:[1,0,1] neg_lo:[0,0,1] neg_hi:[0,0,1]
	v_pk_mul_f16 v52, 0xbbb23bf7, v49 op_sel_hi:[1,0]
	buffer_gl0_inv
	v_pk_add_f16 v53, v19, v53
	v_pk_add_f16 v1, v1, v51
	v_pk_fma_f16 v19, 0xb4612de8, v50, v52 op_sel_hi:[1,0,1] neg_lo:[0,0,1] neg_hi:[0,0,1]
	v_pk_fma_f16 v51, 0xb4612de8, v50, v52 op_sel_hi:[1,0,1]
	v_pk_add_f16 v19, v1, v19
	v_pk_add_f16 v1, v53, v51
	s_and_saveexec_b32 s1, s0
	s_cbranch_execz .LBB0_15
; %bb.14:
	v_add_f16_e32 v27, v22, v27
	v_pack_b32_f16 v42, v42, v42
	v_pack_b32_f16 v44, v44, v44
	;; [unrolled: 1-line block ×3, first 2 shown]
	v_perm_b32 v22, v22, v22, 0x5040100
	v_add_f16_e32 v26, v27, v26
	v_pack_b32_f16 v43, v43, v43
	v_pack_b32_f16 v27, v40, v40
	;; [unrolled: 1-line block ×4, first 2 shown]
	v_add_f16_e32 v25, v26, v25
	v_pack_b32_f16 v26, v39, v39
	v_pack_b32_f16 v39, v45, v45
	;; [unrolled: 1-line block ×3, first 2 shown]
	v_pk_mul_f16 v48, 0xbbf7b964, v2
	v_add_f16_e32 v24, v25, v24
	v_pack_b32_f16 v25, v37, v37
	v_pack_b32_f16 v37, v47, v47
	v_pk_mul_f16 v47, 0xb964b5c8, v42
	v_pk_fma_f16 v58, 0x2de839e9, v43, v48 neg_lo:[0,0,1] neg_hi:[0,0,1]
	v_add_f16_e32 v23, v24, v23
	v_pack_b32_f16 v24, v49, v49
	v_pk_mul_f16 v49, 0xba62bb29, v27
	v_pk_fma_f16 v57, 0x39e93b76, v44, v47 neg_lo:[0,0,1] neg_hi:[0,0,1]
	v_pack_b32_f16 v38, v38, v38
	v_add_f16_e32 v21, v23, v21
	v_pk_mul_f16 v23, 0xb1e1bbf7, v26
	v_pk_fma_f16 v47, 0x39e93b76, v44, v47
	v_pk_add_f16 v57, v22, v57
	v_pack_b32_f16 v41, v46, v46
	v_add_f16_e32 v20, v21, v20
	v_pack_b32_f16 v46, v50, v50
	v_pk_mul_f16 v50, 0x3836bbb2, v38
	v_pk_add_f16 v57, v57, v58
	v_pk_mul_f16 v53, 0xbbf7bb29, v42
	v_add_f16_e32 v13, v20, v13
	v_pk_fma_f16 v59, 0xbbdd2de8, v40, v23 neg_lo:[0,0,1] neg_hi:[0,0,1]
	v_pk_mul_f16 v51, 0x3bb2ba62, v25
	v_pk_mul_f16 v54, 0xb1e1ba62, v2
	v_pk_fma_f16 v60, 0xbacdb461, v39, v50 neg_lo:[0,0,1] neg_hi:[0,0,1]
	v_add_f16_e32 v13, v13, v17
	v_pk_fma_f16 v17, 0xb8d23722, v3, v49 neg_lo:[0,0,1] neg_hi:[0,0,1]
	v_pk_mul_f16 v52, 0x3b29b836, v45
	v_pk_mul_f16 v55, 0x3bb231e1, v27
	v_pk_fma_f16 v23, 0xbbdd2de8, v40, v23
	v_add_f16_e32 v13, v16, v13
	v_pk_add_f16 v17, v57, v17
	v_pk_fma_f16 v16, 0xb461b8d2, v41, v51 neg_lo:[0,0,1] neg_hi:[0,0,1]
	v_pk_fma_f16 v61, 0x3722bacd, v37, v52 neg_lo:[0,0,1] neg_hi:[0,0,1]
	v_pk_mul_f16 v21, 0x35c8b1e1, v24
	v_add_f16_e32 v9, v9, v13
	v_pk_fma_f16 v13, 0x2de839e9, v43, v48
	v_pk_fma_f16 v48, 0xb8d23722, v3, v49
	v_pk_fma_f16 v49, 0x2de83722, v44, v53 neg_lo:[0,0,1] neg_hi:[0,0,1]
	v_pk_add_f16 v17, v17, v59
	v_add_f16_e32 v8, v8, v9
	v_pk_add_f16 v9, v22, v47
	v_pk_fma_f16 v47, 0xbacdb461, v39, v50
	v_pk_mul_f16 v2, 0x3bb23836, v2
	v_pk_add_f16 v17, v17, v60
	v_add_f16_e32 v7, v7, v8
	v_pk_add_f16 v8, v9, v13
	v_pk_fma_f16 v9, 0xbbddb8d2, v43, v54 neg_lo:[0,0,1] neg_hi:[0,0,1]
	v_pk_add_f16 v13, v22, v49
	v_pk_mul_f16 v20, 0x35c83bb2, v26
	v_add_f16_e32 v6, v6, v7
	v_pk_add_f16 v7, v8, v48
	v_pk_fma_f16 v8, 0xb461bbdd, v3, v55 neg_lo:[0,0,1] neg_hi:[0,0,1]
	v_pk_add_f16 v9, v13, v9
	v_pk_add_f16 v13, v17, v16
	v_add_f16_e32 v5, v5, v6
	v_pk_add_f16 v6, v7, v23
	v_pk_fma_f16 v16, 0x3b76bbdd, v46, v21 neg_lo:[0,0,1] neg_hi:[0,0,1]
	v_pk_add_f16 v8, v9, v8
	v_pk_add_f16 v9, v13, v61
	v_add_f16_e32 v13, v4, v5
	v_pk_add_f16 v4, v6, v47
	v_pk_fma_f16 v5, 0xb461b8d2, v41, v51
	v_pk_fma_f16 v17, 0x3722bacd, v37, v52
	;; [unrolled: 1-line block ×3, first 2 shown]
	v_pk_mul_f16 v27, 0xb5c83964, v27
	v_pk_mul_f16 v56, 0xbb293964, v38
	v_pk_add_f16 v4, v4, v5
	v_pk_add_f16 v5, v9, v16
	;; [unrolled: 1-line block ×3, first 2 shown]
	v_pk_fma_f16 v16, 0xbbddb8d2, v43, v54
	v_pk_fma_f16 v7, 0x3b76b461, v40, v20 neg_lo:[0,0,1] neg_hi:[0,0,1]
	v_pk_add_f16 v4, v4, v17
	v_pk_fma_f16 v17, 0x3b76bbdd, v46, v21
	v_pk_mul_f16 v21, 0xba62bbb2, v42
	v_pk_add_f16 v9, v9, v16
	v_pk_fma_f16 v16, 0xb461bbdd, v3, v55
	v_pk_fma_f16 v20, 0x3b76b461, v40, v20
	v_pk_mul_f16 v26, 0xb836bb29, v26
	v_pk_fma_f16 v42, 0xb8d2b461, v44, v21 neg_lo:[0,0,1] neg_hi:[0,0,1]
	v_pk_fma_f16 v21, 0xb8d2b461, v44, v21
	v_pk_add_f16 v9, v9, v16
	v_pk_add_f16 v6, v8, v7
	v_pk_fma_f16 v7, 0x372239e9, v39, v56 neg_lo:[0,0,1] neg_hi:[0,0,1]
	v_pk_add_f16 v16, v22, v42
	v_pk_fma_f16 v42, 0xb461bacd, v43, v2 neg_lo:[0,0,1] neg_hi:[0,0,1]
	v_pk_add_f16 v21, v22, v21
	v_pk_fma_f16 v2, 0xb461bacd, v43, v2
	v_pk_fma_f16 v22, 0x3b7639e9, v3, v27 neg_lo:[0,0,1] neg_hi:[0,0,1]
	v_pk_fma_f16 v3, 0x3b7639e9, v3, v27
	v_pk_add_f16 v16, v16, v42
	v_pk_mul_f16 v8, 0xb836b5c8, v25
	v_pk_add_f16 v2, v21, v2
	v_pk_add_f16 v9, v9, v20
	v_pk_fma_f16 v20, 0xbacd3722, v40, v26 neg_lo:[0,0,1] neg_hi:[0,0,1]
	v_pk_add_f16 v16, v16, v22
	v_pk_mul_f16 v21, 0x3bf7b1e1, v38
	v_pk_add_f16 v2, v2, v3
	v_pk_fma_f16 v3, 0xbacd3722, v40, v26
	v_pk_add_f16 v6, v6, v7
	v_pk_fma_f16 v7, 0xbacd3b76, v41, v8 neg_lo:[0,0,1] neg_hi:[0,0,1]
	v_pk_mul_f16 v23, 0x3a62bbf7, v45
	v_pk_fma_f16 v22, 0x372239e9, v39, v56
	v_pk_add_f16 v16, v16, v20
	v_pk_fma_f16 v20, 0x2de8bbdd, v39, v21 neg_lo:[0,0,1] neg_hi:[0,0,1]
	v_pk_mul_f16 v25, 0xb9643bf7, v25
	v_pk_add_f16 v2, v2, v3
	v_pk_fma_f16 v3, 0x2de8bbdd, v39, v21
	v_pk_add_f16 v6, v6, v7
	v_pk_fma_f16 v7, 0xb8d22de8, v37, v23 neg_lo:[0,0,1] neg_hi:[0,0,1]
	v_pk_add_f16 v9, v9, v22
	v_pk_fma_f16 v8, 0xbacd3b76, v41, v8
	v_pk_add_f16 v16, v16, v20
	v_pk_fma_f16 v20, 0x39e92de8, v41, v25 neg_lo:[0,0,1] neg_hi:[0,0,1]
	v_pk_add_f16 v2, v2, v3
	v_pk_fma_f16 v3, 0x39e92de8, v41, v25
	v_pk_mul_f16 v21, 0xb1e1b5c8, v45
	v_pk_add_f16 v6, v6, v7
	v_pk_mul_f16 v7, 0x3964b836, v24
	v_pk_add_f16 v8, v9, v8
	v_pk_fma_f16 v9, 0xb8d22de8, v37, v23
	v_pk_add_f16 v16, v16, v20
	v_pk_add_f16 v2, v2, v3
	v_pk_fma_f16 v3, 0xbbdd3b76, v37, v21
	v_pk_mul_f16 v20, 0x3b29ba62, v24
	v_pk_fma_f16 v21, 0xbbdd3b76, v37, v21 neg_lo:[0,0,1] neg_hi:[0,0,1]
	v_pk_fma_f16 v47, 0x39e9bacd, v46, v7 neg_lo:[0,0,1] neg_hi:[0,0,1]
	v_pk_add_f16 v8, v8, v9
	v_pk_fma_f16 v7, 0x39e9bacd, v46, v7
	v_pk_add_f16 v2, v2, v3
	v_pk_fma_f16 v3, 0x3722b8d2, v46, v20
	v_pk_add_f16 v9, v16, v21
	v_pk_fma_f16 v16, 0x3722b8d2, v46, v20 neg_lo:[0,0,1] neg_hi:[0,0,1]
	v_pk_add_f16 v4, v4, v17
	v_pk_add_f16 v6, v6, v47
	;; [unrolled: 1-line block ×5, first 2 shown]
	v_lshl_add_u32 v9, v12, 5, v36
	v_alignbit_b32 v8, v19, v19, 16
	v_alignbit_b32 v2, v2, v2, 16
	;; [unrolled: 1-line block ×4, first 2 shown]
	ds_write_b16 v9, v13
	ds_write_b128 v9, v[5:8] offset:2
	ds_write_b128 v9, v[1:4] offset:18
.LBB0_15:
	s_or_b32 exec_lo, exec_lo, s1
	v_and_b32_e32 v2, 0xff, v12
	v_mov_b32_e32 v3, 7
	s_load_dwordx2 s[2:3], s[2:3], 0x0
	s_waitcnt lgkmcnt(0)
	s_barrier
	v_mul_lo_u16 v2, 0xf1, v2
	buffer_gl0_inv
	v_mov_b32_e32 v16, 0x110
	v_mov_b32_e32 v23, 1
	v_cmp_gt_u32_e64 s0, 0x88, v12
	v_lshrrev_b16 v6, 12, v2
	v_mul_lo_u16 v2, v6, 17
	v_mul_u32_u24_sdwa v6, v6, v16 dst_sel:DWORD dst_unused:UNUSED_PAD src0_sel:WORD_0 src1_sel:DWORD
	v_sub_nc_u16 v8, v12, v2
	v_mul_u32_u24_sdwa v2, v8, v3 dst_sel:DWORD dst_unused:UNUSED_PAD src0_sel:BYTE_0 src1_sel:DWORD
	v_lshlrev_b32_sdwa v16, v23, v8 dst_sel:DWORD dst_unused:UNUSED_PAD src0_sel:DWORD src1_sel:BYTE_0
	v_lshlrev_b32_e32 v7, 2, v2
	v_add3_u32 v6, 0, v6, v16
	s_clause 0x1
	global_load_dwordx4 v[2:5], v7, s[12:13]
	global_load_dwordx3 v[20:22], v7, s[12:13] offset:16
	ds_read_u16 v9, v36 offset:374
	ds_read_u16 v13, v36 offset:748
	;; [unrolled: 1-line block ×7, first 2 shown]
	ds_read_u16 v8, v36
	s_waitcnt vmcnt(0) lgkmcnt(0)
	s_barrier
	buffer_gl0_inv
	v_mul_f16_sdwa v23, v9, v2 dst_sel:DWORD dst_unused:UNUSED_PAD src0_sel:DWORD src1_sel:WORD_1
	v_mul_f16_sdwa v16, v35, v2 dst_sel:DWORD dst_unused:UNUSED_PAD src0_sel:DWORD src1_sel:WORD_1
	;; [unrolled: 1-line block ×13, first 2 shown]
	v_fmac_f16_e32 v23, v35, v2
	v_fma_f16 v9, v9, v2, -v16
	v_fmac_f16_e32 v27, v34, v3
	v_fma_f16 v2, v13, v3, -v37
	;; [unrolled: 2-line block ×3, first 2 shown]
	v_fmac_f16_e32 v40, v29, v5
	v_fmac_f16_e32 v41, v32, v20
	v_fma_f16 v13, v24, v20, -v42
	v_fmac_f16_e32 v43, v31, v21
	v_fma_f16 v16, v25, v21, -v44
	;; [unrolled: 2-line block ×3, first 2 shown]
	v_sub_f16_e32 v20, v28, v40
	v_sub_f16_e32 v4, v27, v43
	;; [unrolled: 1-line block ×7, first 2 shown]
	v_fma_f16 v25, v28, 2.0, -v20
	v_fma_f16 v26, v27, 2.0, -v4
	;; [unrolled: 1-line block ×5, first 2 shown]
	v_add_f16_e32 v28, v20, v16
	v_add_f16_e32 v30, v22, v17
	v_fma_f16 v27, v3, 2.0, -v17
	v_sub_f16_e32 v32, v13, v24
	v_sub_f16_e32 v26, v25, v26
	v_fma_f16 v33, v20, 2.0, -v28
	v_sub_f16_e32 v3, v23, v9
	v_fma_f16 v20, v22, 2.0, -v30
	;; [unrolled: 2-line block ×3, first 2 shown]
	v_fmamk_f16 v24, v30, 0x39a8, v28
	v_fma_f16 v34, v25, 2.0, -v26
	v_fma_f16 v25, v23, 2.0, -v3
	v_fmamk_f16 v22, v20, 0xb9a8, v33
	v_add_f16_e32 v23, v26, v31
	v_fmac_f16_e32 v24, 0x39a8, v32
	v_mul_f16_e32 v9, 0x39a8, v30
	v_sub_f16_e32 v25, v34, v25
	v_fmac_f16_e32 v22, 0x39a8, v27
	v_mul_f16_e32 v17, 0x39a8, v32
	v_mul_f16_e32 v13, 0x39a8, v20
	;; [unrolled: 1-line block ×3, first 2 shown]
	v_fma_f16 v27, v26, 2.0, -v23
	v_fma_f16 v26, v28, 2.0, -v24
	;; [unrolled: 1-line block ×4, first 2 shown]
	ds_write_b16 v6, v23 offset:204
	ds_write_b16 v6, v24 offset:238
	;; [unrolled: 1-line block ×6, first 2 shown]
	ds_write_b16 v6, v20
	ds_write_b16 v6, v28 offset:34
	s_waitcnt lgkmcnt(0)
	s_barrier
	buffer_gl0_inv
	s_and_saveexec_b32 s1, s0
	s_cbranch_execz .LBB0_17
; %bb.16:
	ds_read_u16 v0, v36 offset:2448
	ds_read_u16 v18, v36 offset:2176
	ds_read_u16 v20, v36
	ds_read_u16 v28, v36 offset:272
	ds_read_u16 v27, v36 offset:544
	ds_read_u16 v26, v36 offset:816
	ds_read_u16 v25, v36 offset:1088
	ds_read_u16 v22, v36 offset:1360
	ds_read_u16 v23, v36 offset:1632
	ds_read_u16 v24, v36 offset:1904
	s_waitcnt lgkmcnt(9)
	ds_read_u16_d16_hi v0, v36 offset:2720
.LBB0_17:
	s_or_b32 exec_lo, exec_lo, s1
	v_mul_f16_sdwa v29, v29, v5 dst_sel:DWORD dst_unused:UNUSED_PAD src0_sel:DWORD src1_sel:WORD_1
	v_fma_f16 v2, v2, 2.0, -v16
	s_waitcnt lgkmcnt(0)
	s_barrier
	buffer_gl0_inv
	v_fma_f16 v5, v7, v5, -v29
	v_sub_f16_e32 v5, v8, v5
	v_fma_f16 v7, v8, 2.0, -v5
	v_sub_f16_e32 v4, v5, v4
	v_fma_f16 v8, v21, 2.0, -v31
	;; [unrolled: 2-line block ×3, first 2 shown]
	v_add_f16_e32 v16, v4, v17
	v_fma_f16 v7, v7, 2.0, -v2
	v_sub_f16_e32 v17, v5, v30
	v_sub_f16_e32 v29, v2, v3
	;; [unrolled: 1-line block ×3, first 2 shown]
	ds_write_b16 v6, v29 offset:204
	ds_write_b16 v6, v32 offset:238
	v_sub_f16_e32 v31, v7, v8
	v_sub_f16_e32 v30, v17, v13
	v_fma_f16 v34, v2, 2.0, -v29
	v_fma_f16 v33, v4, 2.0, -v32
	;; [unrolled: 1-line block ×4, first 2 shown]
	ds_write_b16 v6, v34 offset:68
	ds_write_b16 v6, v33 offset:102
	;; [unrolled: 1-line block ×4, first 2 shown]
	ds_write_b16 v6, v21
	ds_write_b16 v6, v35 offset:34
	s_waitcnt lgkmcnt(0)
	s_barrier
	buffer_gl0_inv
	s_and_saveexec_b32 s1, s0
	s_cbranch_execnz .LBB0_20
; %bb.18:
	s_or_b32 exec_lo, exec_lo, s1
	s_and_b32 s0, vcc_lo, s0
	s_and_saveexec_b32 s1, s0
	s_cbranch_execnz .LBB0_21
.LBB0_19:
	s_endpgm
.LBB0_20:
	ds_read_u16 v1, v36 offset:2448
	ds_read_u16 v19, v36 offset:2176
	ds_read_u16 v21, v36
	ds_read_u16 v35, v36 offset:272
	ds_read_u16 v34, v36 offset:544
	;; [unrolled: 1-line block ×7, first 2 shown]
	s_waitcnt lgkmcnt(9)
	ds_read_u16_d16_hi v1, v36 offset:2720
	s_or_b32 exec_lo, exec_lo, s1
	s_and_b32 s0, vcc_lo, s0
	s_and_saveexec_b32 s1, s0
	s_cbranch_execz .LBB0_19
.LBB0_21:
	v_mul_u32_u24_e32 v2, 10, v12
	v_mul_lo_u32 v36, s3, v14
	v_mul_lo_u32 v15, s2, v15
	v_mad_u64_u32 v[13:14], null, s2, v14, 0
	v_lshlrev_b32_e32 v6, 2, v2
	v_lshlrev_b64 v[10:11], 2, v[10:11]
	s_clause 0x2
	global_load_dwordx4 v[2:5], v6, s[12:13] offset:476
	global_load_dwordx2 v[16:17], v6, s[12:13] offset:508
	global_load_dwordx4 v[6:9], v6, s[12:13] offset:492
	v_add3_u32 v14, v14, v15, v36
	v_lshlrev_b64 v[14:15], 2, v[13:14]
	v_mov_b32_e32 v13, 0
	v_lshlrev_b64 v[12:13], 2, v[12:13]
	v_add_co_u32 v14, vcc_lo, s10, v14
	v_add_co_ci_u32_e32 v15, vcc_lo, s11, v15, vcc_lo
	v_add_co_u32 v10, vcc_lo, v14, v10
	v_add_co_ci_u32_e32 v11, vcc_lo, v15, v11, vcc_lo
	v_lshrrev_b32_e32 v14, 16, v0
	s_waitcnt lgkmcnt(0)
	v_lshrrev_b32_e32 v15, 16, v1
	v_add_co_u32 v10, vcc_lo, v10, v12
	v_add_co_ci_u32_e32 v11, vcc_lo, v11, v13, vcc_lo
	v_add_co_u32 v12, vcc_lo, 0x800, v10
	v_add_co_ci_u32_e32 v13, vcc_lo, 0, v11, vcc_lo
	s_waitcnt vmcnt(2)
	v_mul_f16_sdwa v36, v35, v2 dst_sel:DWORD dst_unused:UNUSED_PAD src0_sel:DWORD src1_sel:WORD_1
	s_waitcnt vmcnt(1)
	v_mul_f16_sdwa v37, v15, v17 dst_sel:DWORD dst_unused:UNUSED_PAD src0_sel:DWORD src1_sel:WORD_1
	v_mul_f16_sdwa v38, v14, v17 dst_sel:DWORD dst_unused:UNUSED_PAD src0_sel:DWORD src1_sel:WORD_1
	;; [unrolled: 1-line block ×8, first 2 shown]
	s_waitcnt vmcnt(0)
	v_mul_f16_sdwa v45, v19, v9 dst_sel:DWORD dst_unused:UNUSED_PAD src0_sel:DWORD src1_sel:WORD_1
	v_mul_f16_sdwa v46, v18, v9 dst_sel:DWORD dst_unused:UNUSED_PAD src0_sel:DWORD src1_sel:WORD_1
	;; [unrolled: 1-line block ×11, first 2 shown]
	v_fmac_f16_e32 v36, v28, v2
	v_fmac_f16_e32 v37, v14, v17
	v_fma_f16 v14, v15, v17, -v38
	v_fma_f16 v2, v35, v2, -v39
	v_fmac_f16_e32 v40, v27, v3
	v_fmac_f16_e32 v41, v0, v16
	v_fma_f16 v15, v1, v16, -v42
	v_fma_f16 v0, v34, v3, -v43
	v_fmac_f16_e32 v44, v26, v4
	v_fmac_f16_e32 v45, v18, v9
	v_fma_f16 v3, v19, v9, -v46
	v_fma_f16 v1, v33, v4, -v47
	v_fmac_f16_e32 v48, v25, v5
	v_fmac_f16_e32 v49, v24, v8
	v_fma_f16 v4, v32, v8, -v50
	v_fma_f16 v5, v31, v5, -v51
	v_fmac_f16_e32 v52, v22, v6
	v_fmac_f16_e32 v53, v23, v7
	v_fma_f16 v7, v29, v7, -v54
	v_fma_f16 v6, v30, v6, -v55
	v_sub_f16_e32 v8, v36, v37
	v_add_f16_e32 v9, v2, v14
	v_sub_f16_e32 v16, v40, v41
	v_add_f16_e32 v17, v0, v15
	;; [unrolled: 2-line block ×5, first 2 shown]
	v_sub_f16_e32 v27, v2, v14
	v_sub_f16_e32 v29, v0, v15
	v_add_f16_e32 v30, v20, v36
	v_add_f16_e32 v2, v21, v2
	;; [unrolled: 1-line block ×4, first 2 shown]
	v_mul_f16_e32 v38, 0xbbeb, v8
	v_mul_f16_e32 v39, 0x3482, v16
	;; [unrolled: 1-line block ×35, first 2 shown]
	v_add_f16_e32 v30, v30, v40
	v_add_f16_e32 v0, v2, v0
	v_sub_f16_e32 v31, v1, v3
	v_sub_f16_e32 v33, v5, v4
	;; [unrolled: 1-line block ×3, first 2 shown]
	v_fmamk_f16 v89, v9, 0xb08e, v38
	v_fmamk_f16 v90, v17, 0xbbad, v39
	v_fmamk_f16 v91, v19, 0x36a6, v42
	v_fmamk_f16 v92, v23, 0x3abb, v43
	v_fmamk_f16 v93, v25, 0xb93d, v46
	v_fma_f16 v94, v26, 0xb08e, -v47
	v_fma_f16 v95, v28, 0xbbad, -v50
	v_fmamk_f16 v96, v9, 0xb93d, v51
	v_fmamk_f16 v97, v17, 0xb08e, v54
	v_fmamk_f16 v98, v19, 0x3abb, v55
	v_fmamk_f16 v99, v23, 0xbbad, v56
	v_fmamk_f16 v100, v25, 0x36a6, v57
	v_fma_f16 v101, v26, 0xb93d, -v58
	v_fma_f16 v102, v28, 0xb08e, -v59
	;; [unrolled: 7-line block ×3, first 2 shown]
	v_fma_f16 v60, v9, 0xbbad, -v60
	v_fma_f16 v61, v17, 0x3abb, -v61
	v_fma_f16 v62, v19, 0xb93d, -v62
	v_fma_f16 v63, v23, 0x36a6, -v63
	v_fma_f16 v64, v25, 0xb08e, -v64
	v_fmac_f16_e32 v65, 0xbbad, v26
	v_fmac_f16_e32 v66, 0x3abb, v28
	v_fma_f16 v51, v9, 0xb93d, -v51
	v_fma_f16 v54, v17, 0xb08e, -v54
	v_fma_f16 v55, v19, 0x3abb, -v55
	v_fma_f16 v56, v23, 0xbbad, -v56
	v_fma_f16 v57, v25, 0x36a6, -v57
	v_fmac_f16_e32 v58, 0xb93d, v26
	v_fmac_f16_e32 v59, 0xb08e, v28
	;; [unrolled: 7-line block ×3, first 2 shown]
	v_fmamk_f16 v38, v8, 0x3b47, v67
	v_fmamk_f16 v39, v16, 0x3a0c, v68
	;; [unrolled: 1-line block ×7, first 2 shown]
	v_fmac_f16_e32 v67, 0xbb47, v8
	v_fmac_f16_e32 v74, 0xb853, v8
	v_fmamk_f16 v8, v16, 0x3b47, v75
	v_fmac_f16_e32 v68, 0xba0c, v16
	v_fmac_f16_e32 v75, 0xbb47, v16
	v_fmamk_f16 v16, v18, 0x3beb, v76
	;; [unrolled: 3-line block ×5, first 2 shown]
	v_fma_f16 v72, v26, 0x36a6, -v72
	v_fma_f16 v26, v26, 0x3abb, -v27
	v_fmamk_f16 v27, v28, 0xb93d, v73
	v_fma_f16 v73, v28, 0xb93d, -v73
	v_fmamk_f16 v112, v28, 0x36a6, v29
	v_fma_f16 v28, v28, 0x36a6, -v29
	v_add_f16_e32 v29, v0, v1
	v_add_f16_e32 v30, v30, v44
	;; [unrolled: 1-line block ×5, first 2 shown]
	v_mul_f16_e32 v2, 0xba0c, v31
	v_mul_f16_e32 v40, 0x3b47, v31
	;; [unrolled: 1-line block ×15, first 2 shown]
	v_add_f16_e32 v30, v30, v48
	v_add_f16_e32 v5, v29, v5
	v_add_f16_e32 v29, v21, v89
	v_add_f16_e32 v89, v21, v111
	v_add_f16_e32 v24, v20, v24
	v_fma_f16 v44, v32, 0xb93d, -v2
	v_fmac_f16_e32 v2, 0xb93d, v32
	v_fma_f16 v113, v32, 0x3abb, -v79
	v_fmac_f16_e32 v79, 0x3abb, v32
	v_fma_f16 v114, v32, 0x36a6, -v40
	v_fmac_f16_e32 v40, 0x36a6, v32
	v_fmamk_f16 v115, v32, 0xbbad, v80
	v_fma_f16 v80, v32, 0xbbad, -v80
	v_fmamk_f16 v116, v32, 0xb08e, v31
	v_fma_f16 v31, v32, 0xb08e, -v31
	v_fma_f16 v32, v34, 0x36a6, -v83
	v_fmac_f16_e32 v83, 0x36a6, v34
	v_fma_f16 v117, v34, 0xbbad, -v82
	v_fmac_f16_e32 v82, 0xbbad, v34
	v_fma_f16 v118, v34, 0x3abb, -v81
	v_fmac_f16_e32 v81, 0x3abb, v34
	v_fmamk_f16 v119, v34, 0xb08e, v84
	v_fma_f16 v84, v34, 0xb08e, -v84
	v_fmamk_f16 v120, v34, 0xb93d, v33
	v_fma_f16 v33, v34, 0xb93d, -v33
	;; [unrolled: 10-line block ×3, first 2 shown]
	v_add_f16_e32 v36, v21, v96
	v_add_f16_e32 v48, v21, v103
	;; [unrolled: 1-line block ×107, first 2 shown]
	v_pack_b32_f16 v8, v16, v8
	v_pack_b32_f16 v4, v5, v4
	;; [unrolled: 1-line block ×3, first 2 shown]
	v_add_f16_e32 v6, v37, v18
	v_add_f16_e32 v3, v14, v3
	v_add_co_u32 v0, vcc_lo, 0x1000, v10
	v_pack_b32_f16 v15, v23, v19
	v_pack_b32_f16 v9, v17, v9
	;; [unrolled: 1-line block ×4, first 2 shown]
	v_add_co_ci_u32_e32 v1, vcc_lo, 0, v11, vcc_lo
	v_pack_b32_f16 v16, v32, v31
	v_pack_b32_f16 v20, v24, v21
	;; [unrolled: 1-line block ×3, first 2 shown]
	global_store_dword v[10:11], v8, off offset:544
	global_store_dword v[10:11], v15, off offset:1088
	global_store_dword v[10:11], v9, off offset:1632
	global_store_dword v[12:13], v16, off offset:128
	global_store_dword v[12:13], v2, off offset:672
	v_pack_b32_f16 v2, v6, v3
	global_store_dword v[12:13], v17, off offset:1216
	global_store_dword v[12:13], v19, off offset:1760
	;; [unrolled: 1-line block ×4, first 2 shown]
	global_store_dword v[10:11], v2, off
	global_store_dword v[0:1], v5, off offset:1344
	s_endpgm
	.section	.rodata,"a",@progbits
	.p2align	6, 0x0
	.amdhsa_kernel fft_rtc_back_len1496_factors_17_8_11_wgs_187_tpt_187_halfLds_half_op_CI_CI_unitstride_sbrr_dirReg
		.amdhsa_group_segment_fixed_size 0
		.amdhsa_private_segment_fixed_size 0
		.amdhsa_kernarg_size 104
		.amdhsa_user_sgpr_count 6
		.amdhsa_user_sgpr_private_segment_buffer 1
		.amdhsa_user_sgpr_dispatch_ptr 0
		.amdhsa_user_sgpr_queue_ptr 0
		.amdhsa_user_sgpr_kernarg_segment_ptr 1
		.amdhsa_user_sgpr_dispatch_id 0
		.amdhsa_user_sgpr_flat_scratch_init 0
		.amdhsa_user_sgpr_private_segment_size 0
		.amdhsa_wavefront_size32 1
		.amdhsa_uses_dynamic_stack 0
		.amdhsa_system_sgpr_private_segment_wavefront_offset 0
		.amdhsa_system_sgpr_workgroup_id_x 1
		.amdhsa_system_sgpr_workgroup_id_y 0
		.amdhsa_system_sgpr_workgroup_id_z 0
		.amdhsa_system_sgpr_workgroup_info 0
		.amdhsa_system_vgpr_workitem_id 0
		.amdhsa_next_free_vgpr 125
		.amdhsa_next_free_sgpr 27
		.amdhsa_reserve_vcc 1
		.amdhsa_reserve_flat_scratch 0
		.amdhsa_float_round_mode_32 0
		.amdhsa_float_round_mode_16_64 0
		.amdhsa_float_denorm_mode_32 3
		.amdhsa_float_denorm_mode_16_64 3
		.amdhsa_dx10_clamp 1
		.amdhsa_ieee_mode 1
		.amdhsa_fp16_overflow 0
		.amdhsa_workgroup_processor_mode 1
		.amdhsa_memory_ordered 1
		.amdhsa_forward_progress 0
		.amdhsa_shared_vgpr_count 0
		.amdhsa_exception_fp_ieee_invalid_op 0
		.amdhsa_exception_fp_denorm_src 0
		.amdhsa_exception_fp_ieee_div_zero 0
		.amdhsa_exception_fp_ieee_overflow 0
		.amdhsa_exception_fp_ieee_underflow 0
		.amdhsa_exception_fp_ieee_inexact 0
		.amdhsa_exception_int_div_zero 0
	.end_amdhsa_kernel
	.text
.Lfunc_end0:
	.size	fft_rtc_back_len1496_factors_17_8_11_wgs_187_tpt_187_halfLds_half_op_CI_CI_unitstride_sbrr_dirReg, .Lfunc_end0-fft_rtc_back_len1496_factors_17_8_11_wgs_187_tpt_187_halfLds_half_op_CI_CI_unitstride_sbrr_dirReg
                                        ; -- End function
	.section	.AMDGPU.csdata,"",@progbits
; Kernel info:
; codeLenInByte = 9620
; NumSgprs: 29
; NumVgprs: 125
; ScratchSize: 0
; MemoryBound: 0
; FloatMode: 240
; IeeeMode: 1
; LDSByteSize: 0 bytes/workgroup (compile time only)
; SGPRBlocks: 3
; VGPRBlocks: 15
; NumSGPRsForWavesPerEU: 29
; NumVGPRsForWavesPerEU: 125
; Occupancy: 8
; WaveLimiterHint : 1
; COMPUTE_PGM_RSRC2:SCRATCH_EN: 0
; COMPUTE_PGM_RSRC2:USER_SGPR: 6
; COMPUTE_PGM_RSRC2:TRAP_HANDLER: 0
; COMPUTE_PGM_RSRC2:TGID_X_EN: 1
; COMPUTE_PGM_RSRC2:TGID_Y_EN: 0
; COMPUTE_PGM_RSRC2:TGID_Z_EN: 0
; COMPUTE_PGM_RSRC2:TIDIG_COMP_CNT: 0
	.text
	.p2alignl 6, 3214868480
	.fill 48, 4, 3214868480
	.type	__hip_cuid_752e4d328ec88e8e,@object ; @__hip_cuid_752e4d328ec88e8e
	.section	.bss,"aw",@nobits
	.globl	__hip_cuid_752e4d328ec88e8e
__hip_cuid_752e4d328ec88e8e:
	.byte	0                               ; 0x0
	.size	__hip_cuid_752e4d328ec88e8e, 1

	.ident	"AMD clang version 19.0.0git (https://github.com/RadeonOpenCompute/llvm-project roc-6.4.0 25133 c7fe45cf4b819c5991fe208aaa96edf142730f1d)"
	.section	".note.GNU-stack","",@progbits
	.addrsig
	.addrsig_sym __hip_cuid_752e4d328ec88e8e
	.amdgpu_metadata
---
amdhsa.kernels:
  - .args:
      - .actual_access:  read_only
        .address_space:  global
        .offset:         0
        .size:           8
        .value_kind:     global_buffer
      - .offset:         8
        .size:           8
        .value_kind:     by_value
      - .actual_access:  read_only
        .address_space:  global
        .offset:         16
        .size:           8
        .value_kind:     global_buffer
      - .actual_access:  read_only
        .address_space:  global
        .offset:         24
        .size:           8
        .value_kind:     global_buffer
      - .actual_access:  read_only
        .address_space:  global
        .offset:         32
        .size:           8
        .value_kind:     global_buffer
      - .offset:         40
        .size:           8
        .value_kind:     by_value
      - .actual_access:  read_only
        .address_space:  global
        .offset:         48
        .size:           8
        .value_kind:     global_buffer
      - .actual_access:  read_only
        .address_space:  global
        .offset:         56
        .size:           8
        .value_kind:     global_buffer
      - .offset:         64
        .size:           4
        .value_kind:     by_value
      - .actual_access:  read_only
        .address_space:  global
        .offset:         72
        .size:           8
        .value_kind:     global_buffer
      - .actual_access:  read_only
        .address_space:  global
        .offset:         80
        .size:           8
        .value_kind:     global_buffer
      - .actual_access:  read_only
        .address_space:  global
        .offset:         88
        .size:           8
        .value_kind:     global_buffer
      - .actual_access:  write_only
        .address_space:  global
        .offset:         96
        .size:           8
        .value_kind:     global_buffer
    .group_segment_fixed_size: 0
    .kernarg_segment_align: 8
    .kernarg_segment_size: 104
    .language:       OpenCL C
    .language_version:
      - 2
      - 0
    .max_flat_workgroup_size: 187
    .name:           fft_rtc_back_len1496_factors_17_8_11_wgs_187_tpt_187_halfLds_half_op_CI_CI_unitstride_sbrr_dirReg
    .private_segment_fixed_size: 0
    .sgpr_count:     29
    .sgpr_spill_count: 0
    .symbol:         fft_rtc_back_len1496_factors_17_8_11_wgs_187_tpt_187_halfLds_half_op_CI_CI_unitstride_sbrr_dirReg.kd
    .uniform_work_group_size: 1
    .uses_dynamic_stack: false
    .vgpr_count:     125
    .vgpr_spill_count: 0
    .wavefront_size: 32
    .workgroup_processor_mode: 1
amdhsa.target:   amdgcn-amd-amdhsa--gfx1030
amdhsa.version:
  - 1
  - 2
...

	.end_amdgpu_metadata
